;; amdgpu-corpus repo=ROCm/rocFFT kind=compiled arch=gfx906 opt=O3
	.text
	.amdgcn_target "amdgcn-amd-amdhsa--gfx906"
	.amdhsa_code_object_version 6
	.protected	fft_rtc_back_len1664_factors_13_2_2_4_2_2_2_wgs_208_tpt_208_halfLds_sp_op_CI_CI_unitstride_sbrr_dirReg ; -- Begin function fft_rtc_back_len1664_factors_13_2_2_4_2_2_2_wgs_208_tpt_208_halfLds_sp_op_CI_CI_unitstride_sbrr_dirReg
	.globl	fft_rtc_back_len1664_factors_13_2_2_4_2_2_2_wgs_208_tpt_208_halfLds_sp_op_CI_CI_unitstride_sbrr_dirReg
	.p2align	8
	.type	fft_rtc_back_len1664_factors_13_2_2_4_2_2_2_wgs_208_tpt_208_halfLds_sp_op_CI_CI_unitstride_sbrr_dirReg,@function
fft_rtc_back_len1664_factors_13_2_2_4_2_2_2_wgs_208_tpt_208_halfLds_sp_op_CI_CI_unitstride_sbrr_dirReg: ; @fft_rtc_back_len1664_factors_13_2_2_4_2_2_2_wgs_208_tpt_208_halfLds_sp_op_CI_CI_unitstride_sbrr_dirReg
; %bb.0:
	s_load_dwordx4 s[8:11], s[4:5], 0x58
	s_load_dwordx4 s[12:15], s[4:5], 0x0
	;; [unrolled: 1-line block ×3, first 2 shown]
	v_mul_u32_u24_e32 v1, 0x13c, v0
	v_mov_b32_e32 v3, 0
	v_mov_b32_e32 v33, 0
	s_waitcnt lgkmcnt(0)
	v_cmp_lt_u64_e64 s[0:1], s[14:15], 2
	v_add_u32_sdwa v7, s6, v1 dst_sel:DWORD dst_unused:UNUSED_PAD src0_sel:DWORD src1_sel:WORD_1
	v_mov_b32_e32 v8, v3
	s_and_b64 vcc, exec, s[0:1]
	v_mov_b32_e32 v34, 0
	s_cbranch_vccnz .LBB0_8
; %bb.1:
	s_load_dwordx2 s[0:1], s[4:5], 0x10
	s_add_u32 s2, s18, 8
	s_addc_u32 s3, s19, 0
	s_add_u32 s6, s16, 8
	s_addc_u32 s7, s17, 0
	v_mov_b32_e32 v33, 0
	s_waitcnt lgkmcnt(0)
	s_add_u32 s20, s0, 8
	v_mov_b32_e32 v34, 0
	v_mov_b32_e32 v1, v33
	s_addc_u32 s21, s1, 0
	s_mov_b64 s[22:23], 1
	v_mov_b32_e32 v2, v34
.LBB0_2:                                ; =>This Inner Loop Header: Depth=1
	s_load_dwordx2 s[24:25], s[20:21], 0x0
                                        ; implicit-def: $vgpr5_vgpr6
	s_waitcnt lgkmcnt(0)
	v_or_b32_e32 v4, s25, v8
	v_cmp_ne_u64_e32 vcc, 0, v[3:4]
	s_and_saveexec_b64 s[0:1], vcc
	s_xor_b64 s[26:27], exec, s[0:1]
	s_cbranch_execz .LBB0_4
; %bb.3:                                ;   in Loop: Header=BB0_2 Depth=1
	v_cvt_f32_u32_e32 v4, s24
	v_cvt_f32_u32_e32 v5, s25
	s_sub_u32 s0, 0, s24
	s_subb_u32 s1, 0, s25
	v_mac_f32_e32 v4, 0x4f800000, v5
	v_rcp_f32_e32 v4, v4
	v_mul_f32_e32 v4, 0x5f7ffffc, v4
	v_mul_f32_e32 v5, 0x2f800000, v4
	v_trunc_f32_e32 v5, v5
	v_mac_f32_e32 v4, 0xcf800000, v5
	v_cvt_u32_f32_e32 v5, v5
	v_cvt_u32_f32_e32 v4, v4
	v_mul_lo_u32 v6, s0, v5
	v_mul_hi_u32 v9, s0, v4
	v_mul_lo_u32 v11, s1, v4
	v_mul_lo_u32 v10, s0, v4
	v_add_u32_e32 v6, v9, v6
	v_add_u32_e32 v6, v6, v11
	v_mul_hi_u32 v9, v4, v10
	v_mul_lo_u32 v11, v4, v6
	v_mul_hi_u32 v13, v4, v6
	v_mul_hi_u32 v12, v5, v10
	v_mul_lo_u32 v10, v5, v10
	v_mul_hi_u32 v14, v5, v6
	v_add_co_u32_e32 v9, vcc, v9, v11
	v_addc_co_u32_e32 v11, vcc, 0, v13, vcc
	v_mul_lo_u32 v6, v5, v6
	v_add_co_u32_e32 v9, vcc, v9, v10
	v_addc_co_u32_e32 v9, vcc, v11, v12, vcc
	v_addc_co_u32_e32 v10, vcc, 0, v14, vcc
	v_add_co_u32_e32 v6, vcc, v9, v6
	v_addc_co_u32_e32 v9, vcc, 0, v10, vcc
	v_add_co_u32_e32 v4, vcc, v4, v6
	v_addc_co_u32_e32 v5, vcc, v5, v9, vcc
	v_mul_lo_u32 v6, s0, v5
	v_mul_hi_u32 v9, s0, v4
	v_mul_lo_u32 v10, s1, v4
	v_mul_lo_u32 v11, s0, v4
	v_add_u32_e32 v6, v9, v6
	v_add_u32_e32 v6, v6, v10
	v_mul_lo_u32 v12, v4, v6
	v_mul_hi_u32 v13, v4, v11
	v_mul_hi_u32 v14, v4, v6
	v_mul_hi_u32 v10, v5, v11
	v_mul_lo_u32 v11, v5, v11
	v_mul_hi_u32 v9, v5, v6
	v_add_co_u32_e32 v12, vcc, v13, v12
	v_addc_co_u32_e32 v13, vcc, 0, v14, vcc
	v_mul_lo_u32 v6, v5, v6
	v_add_co_u32_e32 v11, vcc, v12, v11
	v_addc_co_u32_e32 v10, vcc, v13, v10, vcc
	v_addc_co_u32_e32 v9, vcc, 0, v9, vcc
	v_add_co_u32_e32 v6, vcc, v10, v6
	v_addc_co_u32_e32 v9, vcc, 0, v9, vcc
	v_add_co_u32_e32 v6, vcc, v4, v6
	v_addc_co_u32_e32 v9, vcc, v5, v9, vcc
	v_mad_u64_u32 v[4:5], s[0:1], v7, v9, 0
	v_mul_hi_u32 v10, v7, v6
	v_add_co_u32_e32 v11, vcc, v10, v4
	v_addc_co_u32_e32 v12, vcc, 0, v5, vcc
	v_mad_u64_u32 v[4:5], s[0:1], v8, v6, 0
	v_mad_u64_u32 v[9:10], s[0:1], v8, v9, 0
	v_add_co_u32_e32 v4, vcc, v11, v4
	v_addc_co_u32_e32 v4, vcc, v12, v5, vcc
	v_addc_co_u32_e32 v5, vcc, 0, v10, vcc
	v_add_co_u32_e32 v9, vcc, v4, v9
	v_addc_co_u32_e32 v6, vcc, 0, v5, vcc
	v_mul_lo_u32 v10, s25, v9
	v_mul_lo_u32 v11, s24, v6
	v_mad_u64_u32 v[4:5], s[0:1], s24, v9, 0
	v_add3_u32 v5, v5, v11, v10
	v_sub_u32_e32 v10, v8, v5
	v_mov_b32_e32 v11, s25
	v_sub_co_u32_e32 v4, vcc, v7, v4
	v_subb_co_u32_e64 v10, s[0:1], v10, v11, vcc
	v_subrev_co_u32_e64 v11, s[0:1], s24, v4
	v_subbrev_co_u32_e64 v10, s[0:1], 0, v10, s[0:1]
	v_cmp_le_u32_e64 s[0:1], s25, v10
	v_cndmask_b32_e64 v12, 0, -1, s[0:1]
	v_cmp_le_u32_e64 s[0:1], s24, v11
	v_cndmask_b32_e64 v11, 0, -1, s[0:1]
	v_cmp_eq_u32_e64 s[0:1], s25, v10
	v_cndmask_b32_e64 v10, v12, v11, s[0:1]
	v_add_co_u32_e64 v11, s[0:1], 2, v9
	v_addc_co_u32_e64 v12, s[0:1], 0, v6, s[0:1]
	v_add_co_u32_e64 v13, s[0:1], 1, v9
	v_addc_co_u32_e64 v14, s[0:1], 0, v6, s[0:1]
	v_subb_co_u32_e32 v5, vcc, v8, v5, vcc
	v_cmp_ne_u32_e64 s[0:1], 0, v10
	v_cmp_le_u32_e32 vcc, s25, v5
	v_cndmask_b32_e64 v10, v14, v12, s[0:1]
	v_cndmask_b32_e64 v12, 0, -1, vcc
	v_cmp_le_u32_e32 vcc, s24, v4
	v_cndmask_b32_e64 v4, 0, -1, vcc
	v_cmp_eq_u32_e32 vcc, s25, v5
	v_cndmask_b32_e32 v4, v12, v4, vcc
	v_cmp_ne_u32_e32 vcc, 0, v4
	v_cndmask_b32_e64 v4, v13, v11, s[0:1]
	v_cndmask_b32_e32 v6, v6, v10, vcc
	v_cndmask_b32_e32 v5, v9, v4, vcc
.LBB0_4:                                ;   in Loop: Header=BB0_2 Depth=1
	s_andn2_saveexec_b64 s[0:1], s[26:27]
	s_cbranch_execz .LBB0_6
; %bb.5:                                ;   in Loop: Header=BB0_2 Depth=1
	v_cvt_f32_u32_e32 v4, s24
	s_sub_i32 s26, 0, s24
	v_rcp_iflag_f32_e32 v4, v4
	v_mul_f32_e32 v4, 0x4f7ffffe, v4
	v_cvt_u32_f32_e32 v4, v4
	v_mul_lo_u32 v5, s26, v4
	v_mul_hi_u32 v5, v4, v5
	v_add_u32_e32 v4, v4, v5
	v_mul_hi_u32 v4, v7, v4
	v_mul_lo_u32 v5, v4, s24
	v_add_u32_e32 v6, 1, v4
	v_sub_u32_e32 v5, v7, v5
	v_subrev_u32_e32 v9, s24, v5
	v_cmp_le_u32_e32 vcc, s24, v5
	v_cndmask_b32_e32 v5, v5, v9, vcc
	v_cndmask_b32_e32 v4, v4, v6, vcc
	v_add_u32_e32 v6, 1, v4
	v_cmp_le_u32_e32 vcc, s24, v5
	v_cndmask_b32_e32 v5, v4, v6, vcc
	v_mov_b32_e32 v6, v3
.LBB0_6:                                ;   in Loop: Header=BB0_2 Depth=1
	s_or_b64 exec, exec, s[0:1]
	v_mul_lo_u32 v4, v6, s24
	v_mul_lo_u32 v11, v5, s25
	v_mad_u64_u32 v[9:10], s[0:1], v5, s24, 0
	s_load_dwordx2 s[0:1], s[6:7], 0x0
	s_load_dwordx2 s[24:25], s[2:3], 0x0
	v_add3_u32 v4, v10, v11, v4
	v_sub_co_u32_e32 v7, vcc, v7, v9
	v_subb_co_u32_e32 v4, vcc, v8, v4, vcc
	s_waitcnt lgkmcnt(0)
	v_mul_lo_u32 v8, s0, v4
	v_mul_lo_u32 v9, s1, v7
	v_mad_u64_u32 v[33:34], s[0:1], s0, v7, v[33:34]
	s_add_u32 s22, s22, 1
	s_addc_u32 s23, s23, 0
	s_add_u32 s2, s2, 8
	v_mul_lo_u32 v4, s24, v4
	v_mul_lo_u32 v10, s25, v7
	v_mad_u64_u32 v[1:2], s[0:1], s24, v7, v[1:2]
	v_add3_u32 v34, v9, v34, v8
	s_addc_u32 s3, s3, 0
	v_mov_b32_e32 v7, s14
	s_add_u32 s6, s6, 8
	v_mov_b32_e32 v8, s15
	s_addc_u32 s7, s7, 0
	v_cmp_ge_u64_e32 vcc, s[22:23], v[7:8]
	s_add_u32 s20, s20, 8
	v_add3_u32 v2, v10, v2, v4
	s_addc_u32 s21, s21, 0
	s_cbranch_vccnz .LBB0_9
; %bb.7:                                ;   in Loop: Header=BB0_2 Depth=1
	v_mov_b32_e32 v8, v6
	v_mov_b32_e32 v7, v5
	s_branch .LBB0_2
.LBB0_8:
	v_mov_b32_e32 v1, v33
	v_mov_b32_e32 v5, v7
	;; [unrolled: 1-line block ×4, first 2 shown]
.LBB0_9:
	s_load_dwordx2 s[0:1], s[4:5], 0x28
	s_mov_b32 s4, 0x13b13b2
	v_mul_hi_u32 v3, v0, s4
	s_lshl_b64 s[2:3], s[14:15], 3
	s_add_u32 s4, s18, s2
	s_waitcnt lgkmcnt(0)
	v_cmp_gt_u64_e32 vcc, s[0:1], v[5:6]
	v_mul_u32_u24_e32 v3, 0xd0, v3
	v_sub_u32_e32 v3, v0, v3
	s_movk_i32 s0, 0x80
	v_cmp_gt_u32_e64 s[0:1], s0, v3
	s_addc_u32 s5, s19, s3
	s_and_b64 s[14:15], vcc, s[0:1]
	v_mov_b32_e32 v24, 0
	v_mov_b32_e32 v23, 0
                                        ; implicit-def: $vgpr30
                                        ; implicit-def: $vgpr26
                                        ; implicit-def: $vgpr20
                                        ; implicit-def: $vgpr16
                                        ; implicit-def: $vgpr12
                                        ; implicit-def: $vgpr8
                                        ; implicit-def: $vgpr32
                                        ; implicit-def: $vgpr28
                                        ; implicit-def: $vgpr22
                                        ; implicit-def: $vgpr18
                                        ; implicit-def: $vgpr14
                                        ; implicit-def: $vgpr10
	s_and_saveexec_b64 s[6:7], s[14:15]
	s_cbranch_execz .LBB0_11
; %bb.10:
	s_add_u32 s2, s16, s2
	s_addc_u32 s3, s17, s3
	s_load_dwordx2 s[2:3], s[2:3], 0x0
	v_mov_b32_e32 v10, s9
	v_mov_b32_e32 v4, 0
	s_waitcnt lgkmcnt(0)
	v_mul_lo_u32 v0, s3, v5
	v_mul_lo_u32 v9, s2, v6
	v_mad_u64_u32 v[7:8], s[2:3], s2, v5, 0
	v_add3_u32 v8, v8, v9, v0
	v_lshlrev_b64 v[7:8], 3, v[7:8]
	v_add_co_u32_e64 v0, s[2:3], s8, v7
	v_addc_co_u32_e64 v9, s[2:3], v10, v8, s[2:3]
	v_lshlrev_b64 v[7:8], 3, v[33:34]
	v_add_co_u32_e64 v0, s[2:3], v0, v7
	v_addc_co_u32_e64 v9, s[2:3], v9, v8, s[2:3]
	;; [unrolled: 3-line block ×3, first 2 shown]
	v_or_b32_e32 v7, 0x200, v3
	v_mov_b32_e32 v8, v4
	v_lshlrev_b64 v[7:8], 3, v[7:8]
	v_add_co_u32_e64 v35, s[2:3], v0, v7
	v_addc_co_u32_e64 v36, s[2:3], v9, v8, s[2:3]
	v_or_b32_e32 v7, 0x280, v3
	v_mov_b32_e32 v8, v4
	v_lshlrev_b64 v[7:8], 3, v[7:8]
	v_add_co_u32_e64 v37, s[2:3], v0, v7
	v_addc_co_u32_e64 v38, s[2:3], v9, v8, s[2:3]
	;; [unrolled: 5-line block ×9, first 2 shown]
	global_load_dwordx2 v[23:24], v[33:34], off
	global_load_dwordx2 v[29:30], v[33:34], off offset:1024
	global_load_dwordx2 v[25:26], v[33:34], off offset:2048
	;; [unrolled: 1-line block ×3, first 2 shown]
	global_load_dwordx2 v[15:16], v[35:36], off
	global_load_dwordx2 v[11:12], v[37:38], off
	;; [unrolled: 1-line block ×9, first 2 shown]
.LBB0_11:
	s_or_b64 exec, exec, s[6:7]
	s_and_saveexec_b64 s[2:3], s[0:1]
	s_cbranch_execz .LBB0_13
; %bb.12:
	s_waitcnt vmcnt(0)
	v_add_f32_e32 v47, v29, v31
	v_mul_f32_e32 v4, 0xbf788fa5, v47
	v_add_f32_e32 v48, v25, v27
	v_sub_f32_e32 v43, v30, v32
	v_mov_b32_e32 v0, v4
	v_mul_f32_e32 v33, 0x3f62ad3f, v48
	v_fmac_f32_e32 v0, 0x3e750f2a, v43
	v_sub_f32_e32 v45, v26, v28
	v_mov_b32_e32 v34, v33
	v_add_f32_e32 v0, v23, v0
	v_fmac_f32_e32 v34, 0xbeedf032, v45
	v_add_f32_e32 v49, v19, v21
	v_add_f32_e32 v0, v0, v34
	v_mul_f32_e32 v34, 0xbf3f9e67, v49
	v_sub_f32_e32 v44, v20, v22
	v_mov_b32_e32 v35, v34
	v_fmac_f32_e32 v35, 0x3f29c268, v44
	v_add_f32_e32 v50, v15, v17
	v_add_f32_e32 v0, v0, v35
	v_mul_f32_e32 v35, 0x3f116cb1, v50
	v_sub_f32_e32 v41, v16, v18
	v_mov_b32_e32 v36, v35
	v_fmac_f32_e32 v36, 0xbf52af12, v41
	v_add_f32_e32 v51, v11, v13
	v_fmac_f32_e32 v4, 0xbe750f2a, v43
	v_add_f32_e32 v0, v0, v36
	v_mul_f32_e32 v36, 0xbeb58ec6, v51
	v_add_f32_e32 v4, v23, v4
	v_fmac_f32_e32 v33, 0x3eedf032, v45
	v_sub_f32_e32 v40, v12, v14
	v_mov_b32_e32 v37, v36
	v_add_f32_e32 v4, v4, v33
	v_fmac_f32_e32 v34, 0xbf29c268, v44
	v_fmac_f32_e32 v37, 0x3f6f5d39, v40
	v_add_f32_e32 v52, v7, v9
	v_add_f32_e32 v4, v4, v34
	v_fmac_f32_e32 v35, 0x3f52af12, v41
	v_add_f32_e32 v0, v0, v37
	v_mul_f32_e32 v37, 0x3df6dbef, v52
	v_sub_f32_e32 v39, v8, v10
	v_add_f32_e32 v4, v4, v35
	v_fmac_f32_e32 v36, 0xbf6f5d39, v40
	v_mov_b32_e32 v38, v37
	v_add_f32_e32 v4, v4, v36
	v_fmac_f32_e32 v37, 0x3f7e222b, v39
	v_mul_f32_e32 v34, 0xbf3f9e67, v47
	v_add_f32_e32 v33, v4, v37
	v_mov_b32_e32 v4, v34
	v_mul_f32_e32 v35, 0x3df6dbef, v48
	v_fmac_f32_e32 v4, 0x3f29c268, v43
	v_mov_b32_e32 v36, v35
	v_add_f32_e32 v4, v23, v4
	v_fmac_f32_e32 v36, 0xbf7e222b, v45
	v_add_f32_e32 v4, v4, v36
	v_mul_f32_e32 v36, 0x3f116cb1, v49
	v_mov_b32_e32 v37, v36
	v_fmac_f32_e32 v37, 0x3f52af12, v44
	v_fmac_f32_e32 v38, 0xbf7e222b, v39
	v_add_f32_e32 v4, v4, v37
	v_mul_f32_e32 v37, 0xbf788fa5, v50
	v_add_f32_e32 v0, v0, v38
	v_mov_b32_e32 v38, v37
	v_fmac_f32_e32 v38, 0xbe750f2a, v41
	v_fmac_f32_e32 v34, 0xbf29c268, v43
	v_add_f32_e32 v4, v4, v38
	v_mul_f32_e32 v38, 0x3f62ad3f, v51
	v_add_f32_e32 v34, v23, v34
	v_fmac_f32_e32 v35, 0x3f7e222b, v45
	v_mov_b32_e32 v42, v38
	v_add_f32_e32 v34, v34, v35
	v_fmac_f32_e32 v36, 0xbf52af12, v44
	v_fmac_f32_e32 v42, 0xbeedf032, v40
	v_add_f32_e32 v34, v34, v36
	v_fmac_f32_e32 v37, 0x3e750f2a, v41
	v_add_f32_e32 v4, v4, v42
	v_mul_f32_e32 v42, 0xbeb58ec6, v52
	v_add_f32_e32 v34, v34, v37
	v_fmac_f32_e32 v38, 0x3eedf032, v40
	v_mov_b32_e32 v46, v42
	v_add_f32_e32 v34, v34, v38
	v_fmac_f32_e32 v42, 0xbf6f5d39, v39
	v_add_f32_e32 v37, v34, v42
	v_mul_f32_e32 v34, 0xbeb58ec6, v47
	v_mov_b32_e32 v35, v34
	v_mul_f32_e32 v36, 0xbf3f9e67, v48
	v_fmac_f32_e32 v35, 0x3f6f5d39, v43
	v_mov_b32_e32 v38, v36
	v_add_f32_e32 v35, v23, v35
	v_fmac_f32_e32 v38, 0xbf29c268, v45
	v_add_f32_e32 v35, v35, v38
	v_mul_f32_e32 v38, 0x3f62ad3f, v49
	v_mov_b32_e32 v42, v38
	v_fmac_f32_e32 v42, 0xbeedf032, v44
	v_fmac_f32_e32 v46, 0x3f6f5d39, v39
	v_add_f32_e32 v35, v35, v42
	v_mul_f32_e32 v42, 0x3df6dbef, v50
	v_add_f32_e32 v4, v4, v46
	v_mov_b32_e32 v46, v42
	v_fmac_f32_e32 v46, 0x3f7e222b, v41
	v_fmac_f32_e32 v34, 0xbf6f5d39, v43
	v_add_f32_e32 v35, v35, v46
	v_mul_f32_e32 v46, 0xbf788fa5, v51
	v_add_f32_e32 v34, v23, v34
	v_fmac_f32_e32 v36, 0x3f29c268, v45
	v_mov_b32_e32 v53, v46
	v_add_f32_e32 v34, v34, v36
	v_fmac_f32_e32 v38, 0x3eedf032, v44
	v_fmac_f32_e32 v53, 0xbe750f2a, v40
	v_add_f32_e32 v34, v34, v38
	v_fmac_f32_e32 v42, 0xbf7e222b, v41
	v_add_f32_e32 v35, v35, v53
	v_mul_f32_e32 v53, 0x3f116cb1, v52
	v_add_f32_e32 v34, v34, v42
	v_fmac_f32_e32 v46, 0x3e750f2a, v40
	v_mov_b32_e32 v54, v53
	v_add_f32_e32 v34, v34, v46
	v_fmac_f32_e32 v53, 0x3f52af12, v39
	v_mul_f32_e32 v36, 0x3df6dbef, v47
	v_add_f32_e32 v38, v34, v53
	v_mov_b32_e32 v34, v36
	v_mul_f32_e32 v42, 0xbf788fa5, v48
	v_fmac_f32_e32 v34, 0x3f7e222b, v43
	v_mov_b32_e32 v46, v42
	v_add_f32_e32 v34, v23, v34
	v_fmac_f32_e32 v46, 0x3e750f2a, v45
	v_add_f32_e32 v34, v34, v46
	v_mul_f32_e32 v46, 0xbeb58ec6, v49
	v_mov_b32_e32 v53, v46
	v_fmac_f32_e32 v53, 0xbf6f5d39, v44
	v_fmac_f32_e32 v54, 0xbf52af12, v39
	v_add_f32_e32 v34, v34, v53
	v_mul_f32_e32 v53, 0x3f62ad3f, v50
	v_add_f32_e32 v35, v35, v54
	v_mov_b32_e32 v54, v53
	v_fmac_f32_e32 v54, 0xbeedf032, v41
	v_fmac_f32_e32 v36, 0xbf7e222b, v43
	v_add_f32_e32 v34, v34, v54
	v_mul_f32_e32 v54, 0x3f116cb1, v51
	v_add_f32_e32 v36, v23, v36
	v_fmac_f32_e32 v42, 0xbe750f2a, v45
	v_mov_b32_e32 v55, v54
	v_add_f32_e32 v36, v36, v42
	v_fmac_f32_e32 v46, 0x3f6f5d39, v44
	v_fmac_f32_e32 v55, 0x3f52af12, v40
	v_add_f32_e32 v36, v36, v46
	v_fmac_f32_e32 v53, 0x3eedf032, v41
	v_add_f32_e32 v34, v34, v55
	v_mul_f32_e32 v55, 0xbf3f9e67, v52
	v_add_f32_e32 v36, v36, v53
	v_fmac_f32_e32 v54, 0xbf52af12, v40
	v_mov_b32_e32 v56, v55
	v_add_f32_e32 v36, v36, v54
	v_fmac_f32_e32 v55, 0xbf29c268, v39
	v_mul_f32_e32 v46, 0x3f116cb1, v47
	v_add_f32_e32 v42, v36, v55
	v_mov_b32_e32 v36, v46
	v_mul_f32_e32 v53, 0xbeb58ec6, v48
	v_fmac_f32_e32 v46, 0xbf52af12, v43
	v_mov_b32_e32 v54, v53
	v_add_f32_e32 v46, v23, v46
	v_fmac_f32_e32 v53, 0xbf6f5d39, v45
	v_mul_f32_e32 v47, 0x3f62ad3f, v47
	v_fmac_f32_e32 v36, 0x3f52af12, v43
	v_add_f32_e32 v46, v46, v53
	v_mov_b32_e32 v53, v47
	v_add_f32_e32 v36, v23, v36
	v_fmac_f32_e32 v54, 0x3f6f5d39, v45
	v_fmac_f32_e32 v53, 0x3eedf032, v43
	;; [unrolled: 1-line block ×3, first 2 shown]
	v_add_f32_e32 v36, v36, v54
	v_mul_f32_e32 v54, 0xbf788fa5, v49
	v_add_f32_e32 v53, v23, v53
	v_add_f32_e32 v43, v23, v47
	;; [unrolled: 1-line block ×3, first 2 shown]
	v_mov_b32_e32 v55, v54
	v_fmac_f32_e32 v54, 0xbe750f2a, v44
	v_mul_f32_e32 v48, 0x3f116cb1, v48
	v_add_f32_e32 v23, v23, v25
	v_fmac_f32_e32 v55, 0x3e750f2a, v44
	v_add_f32_e32 v46, v46, v54
	v_mov_b32_e32 v54, v48
	v_add_f32_e32 v23, v23, v19
	v_fmac_f32_e32 v56, 0x3f29c268, v39
	v_add_f32_e32 v36, v36, v55
	v_mul_f32_e32 v55, 0xbf3f9e67, v50
	v_fmac_f32_e32 v54, 0x3f52af12, v45
	v_mul_f32_e32 v49, 0x3df6dbef, v49
	v_add_f32_e32 v23, v23, v15
	v_add_f32_e32 v34, v34, v56
	v_mov_b32_e32 v56, v55
	v_add_f32_e32 v53, v53, v54
	v_mov_b32_e32 v54, v49
	v_add_f32_e32 v23, v23, v11
	v_fmac_f32_e32 v56, 0xbf29c268, v41
	v_fmac_f32_e32 v54, 0x3f7e222b, v44
	v_mul_f32_e32 v50, 0xbeb58ec6, v50
	v_add_f32_e32 v23, v23, v7
	v_add_f32_e32 v36, v36, v56
	v_mul_f32_e32 v56, 0x3df6dbef, v51
	v_add_f32_e32 v53, v53, v54
	v_mov_b32_e32 v54, v50
	v_fmac_f32_e32 v48, 0xbf52af12, v45
	v_add_f32_e32 v23, v23, v9
	v_mov_b32_e32 v57, v56
	v_fmac_f32_e32 v54, 0x3f6f5d39, v41
	v_mul_f32_e32 v51, 0xbf3f9e67, v51
	v_add_f32_e32 v43, v43, v48
	v_fmac_f32_e32 v49, 0xbf7e222b, v44
	v_add_f32_e32 v23, v13, v23
	v_fmac_f32_e32 v57, 0xbf7e222b, v40
	v_add_f32_e32 v53, v53, v54
	v_mov_b32_e32 v54, v51
	v_add_f32_e32 v43, v43, v49
	v_fmac_f32_e32 v50, 0xbf6f5d39, v41
	v_add_f32_e32 v23, v17, v23
	v_add_f32_e32 v36, v36, v57
	v_mul_f32_e32 v57, 0x3f62ad3f, v52
	v_fmac_f32_e32 v55, 0x3f29c268, v41
	v_fmac_f32_e32 v54, 0x3f29c268, v40
	v_mul_f32_e32 v52, 0xbf788fa5, v52
	v_add_f32_e32 v41, v43, v50
	v_fmac_f32_e32 v51, 0xbf29c268, v40
	v_add_f32_e32 v23, v21, v23
	v_mov_b32_e32 v58, v57
	v_add_f32_e32 v46, v46, v55
	v_fmac_f32_e32 v56, 0x3f7e222b, v40
	v_add_f32_e32 v53, v53, v54
	v_mov_b32_e32 v54, v52
	v_add_f32_e32 v40, v41, v51
	v_fmac_f32_e32 v52, 0xbe750f2a, v39
	v_add_f32_e32 v23, v27, v23
	v_fmac_f32_e32 v58, 0xbeedf032, v39
	v_add_f32_e32 v46, v46, v56
	v_fmac_f32_e32 v57, 0x3eedf032, v39
	v_fmac_f32_e32 v54, 0x3e750f2a, v39
	v_add_f32_e32 v39, v40, v52
	v_add_f32_e32 v23, v31, v23
	v_mad_u32_u24 v40, v3, 52, 0
	v_add_f32_e32 v36, v36, v58
	v_add_f32_e32 v46, v46, v57
	;; [unrolled: 1-line block ×3, first 2 shown]
	ds_write2_b32 v40, v23, v39 offset1:1
	ds_write2_b32 v40, v46, v42 offset0:2 offset1:3
	ds_write2_b32 v40, v38, v37 offset0:4 offset1:5
	;; [unrolled: 1-line block ×5, first 2 shown]
	ds_write_b32 v40, v53 offset:48
.LBB0_13:
	s_or_b64 exec, exec, s[2:3]
	v_lshl_add_u32 v0, v3, 2, 0
	s_waitcnt vmcnt(12)
	v_add_u32_e32 v23, 0xd00, v0
	v_add_u32_e32 v41, 0x600, v0
	;; [unrolled: 1-line block ×3, first 2 shown]
	s_waitcnt vmcnt(0) lgkmcnt(0)
	s_barrier
	ds_read2_b32 v[33:34], v0 offset1:208
	ds_read2_b32 v[37:38], v23 offset1:208
	ds_read2_b32 v[35:36], v41 offset0:32 offset1:240
	ds_read2_b32 v[39:40], v42 offset0:32 offset1:240
	s_waitcnt lgkmcnt(0)
	s_barrier
	s_and_saveexec_b64 s[2:3], s[0:1]
	s_cbranch_execz .LBB0_15
; %bb.14:
	v_add_f32_e32 v4, v24, v30
	v_add_f32_e32 v4, v4, v26
	;; [unrolled: 1-line block ×10, first 2 shown]
	v_sub_f32_e32 v29, v29, v31
	v_add_f32_e32 v4, v28, v4
	v_add_f32_e32 v30, v30, v32
	v_mul_f32_e32 v31, 0xbeedf032, v29
	s_mov_b32 s6, 0x3f62ad3f
	v_mul_f32_e32 v43, 0xbf52af12, v29
	s_mov_b32 s1, 0x3f116cb1
	;; [unrolled: 2-line block ×6, first 2 shown]
	v_sub_f32_e32 v25, v25, v27
	v_add_f32_e32 v4, v32, v4
	v_fma_f32 v32, v30, s6, -v31
	v_fmac_f32_e32 v31, 0x3f62ad3f, v30
	v_fma_f32 v44, v30, s1, -v43
	v_fmac_f32_e32 v43, 0x3f116cb1, v30
	;; [unrolled: 2-line block ×6, first 2 shown]
	v_add_f32_e32 v26, v26, v28
	v_mul_f32_e32 v27, 0xbf52af12, v25
	v_add_f32_e32 v32, v24, v32
	v_add_f32_e32 v31, v24, v31
	;; [unrolled: 1-line block ×12, first 2 shown]
	v_fma_f32 v28, v26, s1, -v27
	v_fmac_f32_e32 v27, 0x3f116cb1, v26
	v_mul_f32_e32 v29, 0xbf6f5d39, v25
	v_add_f32_e32 v27, v31, v27
	v_fma_f32 v30, v26, s7, -v29
	v_fmac_f32_e32 v29, 0xbeb58ec6, v26
	v_mul_f32_e32 v31, 0xbe750f2a, v25
	v_add_f32_e32 v28, v32, v28
	v_add_f32_e32 v29, v43, v29
	v_fma_f32 v32, v26, s9, -v31
	v_fmac_f32_e32 v31, 0xbf788fa5, v26
	v_mul_f32_e32 v43, 0x3f29c268, v25
	v_add_f32_e32 v30, v44, v30
	v_add_f32_e32 v31, v45, v31
	v_fma_f32 v44, v26, s8, -v43
	v_fmac_f32_e32 v43, 0xbf3f9e67, v26
	v_mul_f32_e32 v45, 0x3f7e222b, v25
	v_mul_f32_e32 v25, 0x3eedf032, v25
	v_sub_f32_e32 v19, v19, v21
	v_add_f32_e32 v43, v47, v43
	v_fma_f32 v47, v26, s6, -v25
	v_fmac_f32_e32 v25, 0x3f62ad3f, v26
	v_add_f32_e32 v20, v20, v22
	v_mul_f32_e32 v21, 0xbf7e222b, v19
	v_add_f32_e32 v24, v24, v25
	v_fma_f32 v22, v20, s0, -v21
	v_fmac_f32_e32 v21, 0x3df6dbef, v20
	v_mul_f32_e32 v25, 0xbe750f2a, v19
	v_add_f32_e32 v32, v46, v32
	v_fma_f32 v46, v26, s0, -v45
	v_fmac_f32_e32 v45, 0x3df6dbef, v26
	v_add_f32_e32 v21, v27, v21
	v_fma_f32 v26, v20, s9, -v25
	v_fmac_f32_e32 v25, 0xbf788fa5, v20
	v_mul_f32_e32 v27, 0x3f6f5d39, v19
	v_add_f32_e32 v22, v28, v22
	v_add_f32_e32 v25, v29, v25
	v_fma_f32 v28, v20, s7, -v27
	v_fmac_f32_e32 v27, 0xbeb58ec6, v20
	v_mul_f32_e32 v29, 0x3eedf032, v19
	v_sub_f32_e32 v15, v15, v17
	v_add_f32_e32 v26, v30, v26
	v_add_f32_e32 v27, v31, v27
	v_fma_f32 v30, v20, s6, -v29
	v_fmac_f32_e32 v29, 0x3f62ad3f, v20
	v_mul_f32_e32 v31, 0xbf52af12, v19
	v_mul_f32_e32 v19, 0xbf29c268, v19
	v_add_f32_e32 v16, v16, v18
	v_mul_f32_e32 v17, 0xbf6f5d39, v15
	v_add_f32_e32 v28, v32, v28
	v_add_f32_e32 v29, v43, v29
	v_fma_f32 v32, v20, s1, -v31
	v_fmac_f32_e32 v31, 0x3f116cb1, v20
	v_fma_f32 v43, v20, s8, -v19
	v_fmac_f32_e32 v19, 0xbf3f9e67, v20
	v_fma_f32 v18, v16, s7, -v17
	v_fmac_f32_e32 v17, 0xbeb58ec6, v16
	v_mul_f32_e32 v20, 0x3f29c268, v15
	v_add_f32_e32 v18, v22, v18
	v_add_f32_e32 v17, v21, v17
	v_fma_f32 v21, v16, s8, -v20
	v_fmac_f32_e32 v20, 0xbf3f9e67, v16
	v_mul_f32_e32 v22, 0x3eedf032, v15
	v_add_f32_e32 v19, v24, v19
	v_add_f32_e32 v20, v25, v20
	v_fma_f32 v24, v16, s6, -v22
	v_fmac_f32_e32 v22, 0x3f62ad3f, v16
	v_mul_f32_e32 v25, 0xbf7e222b, v15
	v_sub_f32_e32 v11, v11, v13
	v_add_f32_e32 v21, v26, v21
	v_add_f32_e32 v22, v27, v22
	v_fma_f32 v26, v16, s0, -v25
	v_fmac_f32_e32 v25, 0x3df6dbef, v16
	v_mul_f32_e32 v27, 0x3e750f2a, v15
	v_mul_f32_e32 v15, 0x3f52af12, v15
	v_add_f32_e32 v12, v12, v14
	v_mul_f32_e32 v13, 0xbf29c268, v11
	v_add_f32_e32 v24, v28, v24
	v_add_f32_e32 v25, v29, v25
	v_fma_f32 v28, v16, s9, -v27
	v_fmac_f32_e32 v27, 0xbf788fa5, v16
	v_fma_f32 v29, v16, s1, -v15
	v_fmac_f32_e32 v15, 0x3f116cb1, v16
	v_fma_f32 v14, v12, s8, -v13
	v_fmac_f32_e32 v13, 0xbf3f9e67, v12
	v_mul_f32_e32 v16, 0x3f7e222b, v11
	v_add_f32_e32 v14, v18, v14
	;; [unrolled: 28-line block ×3, first 2 shown]
	v_add_f32_e32 v46, v50, v46
	v_add_f32_e32 v45, v49, v45
	;; [unrolled: 1-line block ×5, first 2 shown]
	v_fma_f32 v13, v8, s6, -v12
	v_fmac_f32_e32 v12, 0x3f62ad3f, v8
	v_mul_f32_e32 v14, 0xbf29c268, v7
	v_add_f32_e32 v30, v44, v30
	v_add_f32_e32 v32, v46, v32
	;; [unrolled: 1-line block ×6, first 2 shown]
	v_fma_f32 v15, v8, s8, -v14
	v_fmac_f32_e32 v14, 0xbf3f9e67, v8
	v_mul_f32_e32 v16, 0x3f52af12, v7
	v_add_f32_e32 v26, v30, v26
	v_add_f32_e32 v28, v32, v28
	;; [unrolled: 1-line block ×6, first 2 shown]
	v_fma_f32 v17, v8, s1, -v16
	v_fmac_f32_e32 v16, 0x3f116cb1, v8
	v_mul_f32_e32 v18, 0xbf6f5d39, v7
	v_mul_f32_e32 v7, 0x3f7e222b, v7
	v_add_f32_e32 v21, v26, v21
	v_add_f32_e32 v24, v28, v24
	;; [unrolled: 1-line block ×6, first 2 shown]
	v_fma_f32 v19, v8, s7, -v18
	v_fmac_f32_e32 v18, 0xbeb58ec6, v8
	v_fma_f32 v20, v8, s0, -v7
	v_fmac_f32_e32 v7, 0x3df6dbef, v8
	v_mad_u32_u24 v8, v3, 48, v0
	v_add_f32_e32 v17, v21, v17
	v_add_f32_e32 v19, v24, v19
	;; [unrolled: 1-line block ×5, first 2 shown]
	ds_write2_b32 v8, v4, v10 offset1:1
	ds_write2_b32 v8, v13, v15 offset0:2 offset1:3
	ds_write2_b32 v8, v17, v19 offset0:4 offset1:5
	;; [unrolled: 1-line block ×5, first 2 shown]
	ds_write_b32 v8, v9 offset:48
.LBB0_15:
	s_or_b64 exec, exec, s[2:3]
	s_movk_i32 s0, 0x4f
	v_add_u32_e32 v4, 0xd0, v3
	v_mul_lo_u16_sdwa v43, v3, s0 dst_sel:DWORD dst_unused:UNUSED_PAD src0_sel:BYTE_0 src1_sel:DWORD
	s_movk_i32 s0, 0x4ec5
	v_add_u32_e32 v22, 0x1a0, v3
	v_add_u32_e32 v21, 0x270, v3
	v_mul_u32_u24_sdwa v45, v4, s0 dst_sel:DWORD dst_unused:UNUSED_PAD src0_sel:WORD_0 src1_sel:DWORD
	v_lshrrev_b32_e32 v28, 18, v45
	v_mul_u32_u24_sdwa v46, v22, s0 dst_sel:DWORD dst_unused:UNUSED_PAD src0_sel:WORD_0 src1_sel:DWORD
	v_mul_u32_u24_sdwa v47, v21, s0 dst_sel:DWORD dst_unused:UNUSED_PAD src0_sel:WORD_0 src1_sel:DWORD
	v_lshrrev_b16_e32 v26, 10, v43
	v_mul_lo_u16_e32 v8, 13, v28
	v_lshrrev_b32_e32 v30, 18, v46
	v_lshrrev_b32_e32 v32, 18, v47
	v_mul_lo_u16_e32 v7, 13, v26
	v_sub_u16_e32 v29, v4, v8
	v_mul_lo_u16_e32 v8, 13, v30
	v_mul_lo_u16_e32 v12, 13, v32
	v_sub_u16_e32 v27, v3, v7
	v_mov_b32_e32 v44, 3
	v_sub_u16_e32 v31, v22, v8
	v_sub_u16_e32 v48, v21, v12
	v_lshlrev_b32_sdwa v7, v44, v27 dst_sel:DWORD dst_unused:UNUSED_PAD src0_sel:DWORD src1_sel:BYTE_0
	v_lshlrev_b32_e32 v9, 3, v29
	v_lshlrev_b32_e32 v11, 3, v31
	;; [unrolled: 1-line block ×3, first 2 shown]
	s_load_dwordx2 s[2:3], s[4:5], 0x0
	s_waitcnt lgkmcnt(0)
	s_barrier
	global_load_dwordx2 v[7:8], v7, s[12:13]
	v_mov_b32_e32 v49, 2
	global_load_dwordx2 v[9:10], v9, s[12:13]
	v_mul_u32_u24_e32 v26, 0x68, v26
	global_load_dwordx2 v[11:12], v11, s[12:13]
	v_mul_u32_u24_e32 v28, 0x68, v28
	global_load_dwordx2 v[13:14], v13, s[12:13]
	ds_read2_b32 v[15:16], v0 offset1:208
	ds_read2_b32 v[17:18], v23 offset1:208
	ds_read2_b32 v[19:20], v41 offset0:32 offset1:240
	ds_read2_b32 v[24:25], v42 offset0:32 offset1:240
	v_mul_u32_u24_e32 v30, 0x68, v30
	v_mul_u32_u24_e32 v32, 0x68, v32
	v_lshlrev_b32_sdwa v27, v49, v27 dst_sel:DWORD dst_unused:UNUSED_PAD src0_sel:DWORD src1_sel:BYTE_0
	v_lshlrev_b32_e32 v29, 2, v29
	v_lshlrev_b32_e32 v31, 2, v31
	;; [unrolled: 1-line block ×3, first 2 shown]
	v_add3_u32 v26, 0, v26, v27
	v_add3_u32 v27, 0, v28, v29
	;; [unrolled: 1-line block ×4, first 2 shown]
	s_waitcnt vmcnt(0) lgkmcnt(0)
	s_barrier
	v_mul_f32_e32 v30, v17, v8
	v_mul_f32_e32 v8, v37, v8
	;; [unrolled: 1-line block ×8, first 2 shown]
	v_fmac_f32_e32 v30, v37, v7
	v_fma_f32 v7, v17, v7, -v8
	v_fmac_f32_e32 v31, v38, v9
	v_fma_f32 v8, v18, v9, -v10
	;; [unrolled: 2-line block ×4, first 2 shown]
	v_sub_f32_e32 v11, v33, v30
	v_sub_f32_e32 v17, v15, v7
	;; [unrolled: 1-line block ×8, first 2 shown]
	v_fma_f32 v10, v33, 2.0, -v11
	v_fma_f32 v15, v15, 2.0, -v17
	;; [unrolled: 1-line block ×8, first 2 shown]
	ds_write2_b32 v26, v10, v11 offset1:13
	ds_write2_b32 v27, v12, v7 offset1:13
	;; [unrolled: 1-line block ×4, first 2 shown]
	s_waitcnt lgkmcnt(0)
	s_barrier
	ds_read2_b32 v[7:8], v0 offset1:208
	ds_read2_b32 v[9:10], v23 offset1:208
	ds_read2_b32 v[11:12], v41 offset0:32 offset1:240
	ds_read2_b32 v[13:14], v42 offset0:32 offset1:240
	s_waitcnt lgkmcnt(0)
	s_barrier
	ds_write2_b32 v26, v15, v17 offset1:13
	ds_write2_b32 v27, v16, v18 offset1:13
	;; [unrolled: 1-line block ×4, first 2 shown]
	v_lshrrev_b16_e32 v26, 11, v43
	v_mul_lo_u16_e32 v15, 26, v26
	v_lshrrev_b32_e32 v28, 19, v45
	v_sub_u16_e32 v27, v3, v15
	v_mul_lo_u16_e32 v16, 26, v28
	v_lshrrev_b32_e32 v30, 19, v46
	v_lshlrev_b32_sdwa v15, v44, v27 dst_sel:DWORD dst_unused:UNUSED_PAD src0_sel:DWORD src1_sel:BYTE_0
	v_sub_u16_e32 v29, v4, v16
	v_mul_lo_u16_e32 v16, 26, v30
	s_waitcnt lgkmcnt(0)
	s_barrier
	v_lshlrev_b32_e32 v17, 3, v29
	v_sub_u16_e32 v34, v22, v16
	v_lshrrev_b32_e32 v35, 19, v47
	global_load_dwordx2 v[15:16], v15, s[12:13] offset:104
	v_lshlrev_b32_e32 v19, 3, v34
	global_load_dwordx2 v[17:18], v17, s[12:13] offset:104
	v_mul_lo_u16_e32 v20, 26, v35
	v_sub_u16_e32 v36, v21, v20
	global_load_dwordx2 v[19:20], v19, s[12:13] offset:104
	v_lshlrev_b32_e32 v24, 3, v36
	global_load_dwordx2 v[24:25], v24, s[12:13] offset:104
	v_mul_u32_u24_e32 v26, 0xd0, v26
	v_mul_u32_u24_e32 v28, 0xd0, v28
	v_lshlrev_b32_sdwa v27, v49, v27 dst_sel:DWORD dst_unused:UNUSED_PAD src0_sel:DWORD src1_sel:BYTE_0
	v_lshlrev_b32_e32 v29, 2, v29
	v_mul_u32_u24_e32 v37, 0xd0, v30
	v_add3_u32 v38, 0, v26, v27
	v_add3_u32 v39, 0, v28, v29
	ds_read2_b32 v[26:27], v0 offset1:208
	ds_read2_b32 v[28:29], v23 offset1:208
	ds_read2_b32 v[30:31], v41 offset0:32 offset1:240
	ds_read2_b32 v[32:33], v42 offset0:32 offset1:240
	s_waitcnt vmcnt(0) lgkmcnt(0)
	s_barrier
	v_mul_f32_e32 v40, v28, v16
	v_mul_f32_e32 v16, v9, v16
	;; [unrolled: 1-line block ×3, first 2 shown]
	v_fmac_f32_e32 v40, v9, v15
	v_fma_f32 v9, v28, v15, -v16
	v_mul_f32_e32 v50, v32, v20
	v_fmac_f32_e32 v48, v10, v17
	v_sub_f32_e32 v15, v7, v40
	v_mul_f32_e32 v18, v10, v18
	v_fmac_f32_e32 v50, v13, v19
	v_sub_f32_e32 v16, v8, v48
	v_fma_f32 v7, v7, 2.0, -v15
	v_mul_f32_e32 v51, v33, v25
	v_fma_f32 v10, v29, v17, -v18
	v_sub_f32_e32 v17, v11, v50
	v_fma_f32 v8, v8, 2.0, -v16
	ds_write2_b32 v38, v7, v15 offset1:26
	ds_write2_b32 v39, v8, v16 offset1:26
	v_lshlrev_b32_e32 v7, 2, v34
	v_mul_f32_e32 v20, v13, v20
	v_mul_f32_e32 v25, v14, v25
	v_fmac_f32_e32 v51, v14, v24
	v_fma_f32 v11, v11, 2.0, -v17
	v_add3_u32 v7, 0, v37, v7
	v_fma_f32 v13, v32, v19, -v20
	v_fma_f32 v14, v33, v24, -v25
	v_sub_f32_e32 v9, v26, v9
	v_sub_f32_e32 v18, v12, v51
	ds_write2_b32 v7, v11, v17 offset1:26
	v_mul_u32_u24_e32 v8, 0xd0, v35
	v_lshlrev_b32_e32 v11, 2, v36
	v_sub_f32_e32 v10, v27, v10
	v_sub_f32_e32 v13, v30, v13
	;; [unrolled: 1-line block ×3, first 2 shown]
	v_fma_f32 v26, v26, 2.0, -v9
	v_fma_f32 v12, v12, 2.0, -v18
	v_add3_u32 v8, 0, v8, v11
	v_fma_f32 v27, v27, 2.0, -v10
	v_fma_f32 v28, v30, 2.0, -v13
	;; [unrolled: 1-line block ×3, first 2 shown]
	ds_write2_b32 v8, v12, v18 offset1:26
	s_waitcnt lgkmcnt(0)
	s_barrier
	ds_read2_b32 v[15:16], v0 offset1:208
	ds_read2_b32 v[17:18], v41 offset0:32 offset1:240
	ds_read2_b32 v[19:20], v23 offset1:208
	ds_read2_b32 v[24:25], v42 offset0:32 offset1:240
	s_waitcnt lgkmcnt(0)
	s_barrier
	ds_write2_b32 v38, v26, v9 offset1:26
	ds_write2_b32 v39, v27, v10 offset1:26
	;; [unrolled: 1-line block ×4, first 2 shown]
	v_lshrrev_b16_e32 v38, 12, v43
	v_mul_lo_u16_e32 v7, 52, v38
	v_sub_u16_e32 v39, v3, v7
	v_mul_u32_u24_sdwa v7, v39, v44 dst_sel:DWORD dst_unused:UNUSED_PAD src0_sel:BYTE_0 src1_sel:DWORD
	v_lshlrev_b32_e32 v11, 3, v7
	v_lshrrev_b32_e32 v40, 20, v45
	s_waitcnt lgkmcnt(0)
	s_barrier
	global_load_dwordx2 v[26:27], v11, s[12:13] offset:328
	global_load_dwordx4 v[7:10], v11, s[12:13] offset:312
	v_mul_lo_u16_e32 v11, 52, v40
	v_sub_u16_e32 v4, v4, v11
	v_mul_u32_u24_e32 v11, 3, v4
	v_lshlrev_b32_e32 v30, 3, v11
	global_load_dwordx4 v[11:14], v30, s[12:13] offset:312
	global_load_dwordx2 v[28:29], v30, s[12:13] offset:328
	ds_read2_b32 v[30:31], v41 offset0:32 offset1:240
	ds_read2_b32 v[32:33], v23 offset1:208
	ds_read2_b32 v[34:35], v0 offset1:208
	ds_read2_b32 v[36:37], v42 offset0:32 offset1:240
	s_waitcnt vmcnt(0) lgkmcnt(0)
	s_barrier
	v_lshlrev_b32_e32 v4, 2, v4
	v_mul_f32_e32 v45, v36, v27
	v_mul_f32_e32 v43, v30, v8
	;; [unrolled: 1-line block ×6, first 2 shown]
	v_fmac_f32_e32 v43, v17, v7
	v_fma_f32 v7, v30, v7, -v8
	v_fmac_f32_e32 v44, v19, v9
	v_fma_f32 v8, v32, v9, -v10
	v_fma_f32 v9, v36, v26, -v27
	v_mul_f32_e32 v48, v31, v12
	v_mul_f32_e32 v12, v18, v12
	;; [unrolled: 1-line block ×6, first 2 shown]
	v_fmac_f32_e32 v45, v24, v26
	v_sub_f32_e32 v8, v34, v8
	v_sub_f32_e32 v9, v7, v9
	v_fmac_f32_e32 v48, v18, v11
	v_fma_f32 v10, v31, v11, -v12
	v_fmac_f32_e32 v50, v20, v13
	v_fma_f32 v11, v33, v13, -v14
	v_fma_f32 v12, v37, v28, -v29
	v_sub_f32_e32 v13, v15, v44
	v_sub_f32_e32 v14, v43, v45
	v_fma_f32 v18, v34, 2.0, -v8
	v_fma_f32 v7, v7, 2.0, -v9
	v_fmac_f32_e32 v51, v25, v28
	v_sub_f32_e32 v17, v16, v50
	v_sub_f32_e32 v11, v35, v11
	v_fma_f32 v15, v15, 2.0, -v13
	v_fma_f32 v19, v43, 2.0, -v14
	v_sub_f32_e32 v7, v18, v7
	v_sub_f32_e32 v12, v10, v12
	;; [unrolled: 1-line block ×3, first 2 shown]
	v_fma_f32 v14, v16, 2.0, -v17
	v_sub_f32_e32 v16, v15, v19
	v_fma_f32 v19, v18, 2.0, -v7
	v_fma_f32 v18, v35, 2.0, -v11
	v_sub_f32_e32 v24, v48, v51
	v_fma_f32 v10, v10, 2.0, -v12
	v_fma_f32 v25, v48, 2.0, -v24
	v_sub_f32_e32 v10, v18, v10
	v_sub_f32_e32 v24, v11, v24
	v_add_f32_e32 v9, v13, v9
	v_fma_f32 v26, v18, 2.0, -v10
	v_fma_f32 v27, v11, 2.0, -v24
	v_mul_u32_u24_e32 v11, 0x340, v38
	v_lshlrev_b32_sdwa v18, v49, v39 dst_sel:DWORD dst_unused:UNUSED_PAD src0_sel:DWORD src1_sel:BYTE_0
	v_fma_f32 v13, v13, 2.0, -v9
	v_fma_f32 v15, v15, 2.0, -v16
	v_add3_u32 v28, 0, v11, v18
	v_sub_f32_e32 v25, v14, v25
	v_add_f32_e32 v12, v17, v12
	ds_write2_b32 v28, v15, v13 offset1:52
	ds_write2_b32 v28, v16, v9 offset0:104 offset1:156
	v_mul_u32_u24_e32 v9, 0x340, v40
	v_fma_f32 v8, v8, 2.0, -v20
	v_fma_f32 v14, v14, 2.0, -v25
	;; [unrolled: 1-line block ×3, first 2 shown]
	v_add3_u32 v4, 0, v9, v4
	ds_write2_b32 v4, v14, v17 offset1:52
	ds_write2_b32 v4, v25, v12 offset0:104 offset1:156
	s_waitcnt lgkmcnt(0)
	s_barrier
	ds_read2_b32 v[11:12], v0 offset1:208
	ds_read2_b32 v[13:14], v23 offset1:208
	ds_read2_b32 v[15:16], v41 offset0:32 offset1:240
	ds_read2_b32 v[17:18], v42 offset0:32 offset1:240
	s_waitcnt lgkmcnt(0)
	s_barrier
	ds_write2_b32 v28, v19, v8 offset1:52
	ds_write2_b32 v28, v7, v20 offset0:104 offset1:156
	ds_write2_b32 v4, v26, v27 offset1:52
	ds_write2_b32 v4, v10, v24 offset0:104 offset1:156
	v_mov_b32_e32 v4, 0
	v_lshlrev_b64 v[7:8], 3, v[3:4]
	v_mov_b32_e32 v3, s13
	v_add_co_u32_e64 v9, s[0:1], s12, v7
	v_addc_co_u32_e64 v10, s[0:1], v3, v8, s[0:1]
	v_lshrrev_b32_e32 v3, 22, v46
	v_lshrrev_b32_e32 v25, 22, v47
	v_mul_lo_u16_e32 v3, 0xd0, v3
	v_mul_lo_u16_e32 v25, 0xd0, v25
	s_waitcnt lgkmcnt(0)
	s_barrier
	v_sub_u16_e32 v3, v22, v3
	global_load_dwordx2 v[19:20], v[9:10], off offset:1560
	v_sub_u16_e32 v36, v21, v25
	v_lshlrev_b32_e32 v24, 3, v3
	v_lshlrev_b32_e32 v26, 3, v36
	global_load_dwordx2 v[26:27], v26, s[12:13] offset:1560
	v_lshl_add_u32 v3, v3, 2, 0
	global_load_dwordx2 v[24:25], v24, s[12:13] offset:1560
	ds_read2_b32 v[28:29], v23 offset1:208
	ds_read2_b32 v[30:31], v0 offset1:208
	ds_read2_b32 v[32:33], v41 offset0:32 offset1:240
	ds_read2_b32 v[34:35], v42 offset0:32 offset1:240
	s_waitcnt vmcnt(0) lgkmcnt(0)
	s_barrier
	v_add_u32_e32 v3, 0xd00, v3
	s_movk_i32 s0, 0x680
	v_mul_f32_e32 v37, v28, v20
	v_mul_f32_e32 v38, v13, v20
	;; [unrolled: 1-line block ×4, first 2 shown]
	v_fmac_f32_e32 v37, v13, v19
	v_mul_f32_e32 v43, v35, v27
	v_mul_f32_e32 v40, v34, v25
	;; [unrolled: 1-line block ×3, first 2 shown]
	v_fma_f32 v13, v28, v19, -v38
	v_fmac_f32_e32 v39, v14, v19
	v_fma_f32 v14, v29, v19, -v20
	v_sub_f32_e32 v19, v11, v37
	v_mul_f32_e32 v27, v18, v27
	v_fmac_f32_e32 v40, v17, v24
	v_fma_f32 v17, v34, v24, -v25
	v_fmac_f32_e32 v43, v18, v26
	v_sub_f32_e32 v20, v30, v13
	v_fma_f32 v11, v11, 2.0, -v19
	v_sub_f32_e32 v13, v12, v39
	v_fma_f32 v18, v35, v26, -v27
	v_sub_f32_e32 v25, v31, v14
	v_fma_f32 v12, v12, 2.0, -v13
	v_sub_f32_e32 v14, v15, v40
	v_sub_f32_e32 v27, v32, v17
	;; [unrolled: 1-line block ×3, first 2 shown]
	ds_write2_b32 v0, v11, v19 offset1:208
	ds_write2_b32 v41, v12, v13 offset0:32 offset1:240
	v_lshl_add_u32 v11, v36, 2, 0
	v_fma_f32 v24, v30, 2.0, -v20
	v_fma_f32 v15, v15, 2.0, -v14
	v_sub_f32_e32 v29, v33, v18
	v_fma_f32 v16, v16, 2.0, -v17
	v_add_u32_e32 v19, 0x1300, v11
	v_fma_f32 v26, v31, 2.0, -v25
	v_fma_f32 v28, v32, 2.0, -v27
	;; [unrolled: 1-line block ×3, first 2 shown]
	ds_write2_b32 v3, v15, v14 offset1:208
	ds_write2_b32 v19, v16, v17 offset0:32 offset1:240
	s_waitcnt lgkmcnt(0)
	s_barrier
	ds_read2_b32 v[11:12], v0 offset1:208
	ds_read2_b32 v[13:14], v23 offset1:208
	ds_read2_b32 v[15:16], v41 offset0:32 offset1:240
	ds_read2_b32 v[17:18], v42 offset0:32 offset1:240
	s_waitcnt lgkmcnt(0)
	s_barrier
	ds_write2_b32 v0, v24, v20 offset1:208
	ds_write2_b32 v41, v26, v25 offset0:32 offset1:240
	ds_write2_b32 v3, v28, v27 offset1:208
	ds_write2_b32 v19, v30, v29 offset0:32 offset1:240
	v_add_co_u32_e64 v19, s[0:1], s0, v9
	v_addc_co_u32_e64 v20, s[0:1], 0, v10, s[0:1]
	s_waitcnt lgkmcnt(0)
	s_barrier
	global_load_dwordx2 v[24:25], v[9:10], off offset:3224
	global_load_dwordx2 v[26:27], v[19:20], off offset:3224
	ds_read2_b32 v[28:29], v23 offset1:208
	ds_read2_b32 v[30:31], v0 offset1:208
	ds_read2_b32 v[32:33], v41 offset0:32 offset1:240
	ds_read2_b32 v[34:35], v42 offset0:32 offset1:240
	s_waitcnt vmcnt(0) lgkmcnt(0)
	s_barrier
	s_movk_i32 s0, 0x340
	v_mul_f32_e32 v3, v28, v25
	v_mul_f32_e32 v36, v13, v25
	;; [unrolled: 1-line block ×8, first 2 shown]
	v_fmac_f32_e32 v3, v13, v24
	v_fma_f32 v13, v28, v24, -v36
	v_fmac_f32_e32 v37, v14, v26
	v_fma_f32 v14, v29, v26, -v38
	;; [unrolled: 2-line block ×4, first 2 shown]
	v_sub_f32_e32 v3, v11, v3
	v_sub_f32_e32 v24, v30, v13
	v_sub_f32_e32 v13, v12, v37
	v_sub_f32_e32 v25, v31, v14
	v_sub_f32_e32 v14, v15, v39
	v_sub_f32_e32 v26, v32, v17
	v_sub_f32_e32 v17, v16, v40
	v_fma_f32 v11, v11, 2.0, -v3
	v_fma_f32 v12, v12, 2.0, -v13
	;; [unrolled: 1-line block ×4, first 2 shown]
	v_sub_f32_e32 v27, v33, v18
	ds_write2_b32 v0, v11, v12 offset1:208
	ds_write2_b32 v41, v3, v13 offset0:32 offset1:240
	ds_write2_b32 v23, v15, v16 offset1:208
	ds_write2_b32 v42, v14, v17 offset0:32 offset1:240
	s_waitcnt lgkmcnt(0)
	s_barrier
	ds_read2_b32 v[11:12], v0 offset1:208
	ds_read2_b32 v[15:16], v23 offset1:208
	ds_read2_b32 v[13:14], v41 offset0:32 offset1:240
	ds_read2_b32 v[17:18], v42 offset0:32 offset1:240
	v_fma_f32 v28, v30, 2.0, -v24
	v_fma_f32 v29, v31, 2.0, -v25
	;; [unrolled: 1-line block ×4, first 2 shown]
	s_waitcnt lgkmcnt(0)
	s_barrier
	ds_write2_b32 v0, v28, v29 offset1:208
	ds_write2_b32 v41, v24, v25 offset0:32 offset1:240
	ds_write2_b32 v23, v30, v31 offset1:208
	ds_write2_b32 v42, v26, v27 offset0:32 offset1:240
	s_waitcnt lgkmcnt(0)
	s_barrier
	s_and_saveexec_b64 s[4:5], vcc
	s_cbranch_execz .LBB0_17
; %bb.16:
	v_add_co_u32_e32 v23, vcc, 0x2000, v9
	v_addc_co_u32_e32 v24, vcc, 0, v10, vcc
	s_movk_i32 s1, 0x1000
	v_add_co_u32_e32 v19, vcc, s1, v19
	v_addc_co_u32_e32 v20, vcc, 0, v20, vcc
	v_add_co_u32_e32 v9, vcc, s1, v9
	v_addc_co_u32_e32 v10, vcc, 0, v10, vcc
	global_load_dwordx2 v[25:26], v[23:24], off offset:3352
	global_load_dwordx2 v[27:28], v[19:20], off offset:2456
	;; [unrolled: 1-line block ×4, first 2 shown]
	v_mul_lo_u32 v33, s3, v5
	v_mul_lo_u32 v34, s2, v6
	v_mad_u64_u32 v[5:6], s[2:3], s2, v5, 0
	v_add_u32_e32 v3, 0x600, v0
	v_add_u32_e32 v19, 0x1300, v0
	v_add3_u32 v6, v6, v34, v33
	v_lshlrev_b64 v[5:6], 3, v[5:6]
	v_add_u32_e32 v23, 0xd00, v0
	ds_read2_b32 v[9:10], v0 offset1:208
	v_mov_b32_e32 v35, s11
	v_lshlrev_b64 v[0:1], 3, v[1:2]
	ds_read2_b32 v[2:3], v3 offset0:32 offset1:240
	ds_read2_b32 v[19:20], v19 offset0:32 offset1:240
	ds_read2_b32 v[23:24], v23 offset1:208
	v_add_co_u32_e32 v5, vcc, s10, v5
	v_addc_co_u32_e32 v6, vcc, v35, v6, vcc
	v_add_co_u32_e32 v33, vcc, v5, v0
	v_addc_co_u32_e32 v34, vcc, v6, v1, vcc
	s_mov_b32 s3, 0x4ec4ec4f
	v_add_co_u32_e32 v0, vcc, v33, v7
	v_mul_hi_u32 v36, v22, s3
	v_addc_co_u32_e32 v1, vcc, v34, v8, vcc
	v_add_co_u32_e32 v5, vcc, s1, v0
	s_movk_i32 s2, 0x2000
	v_addc_co_u32_e32 v6, vcc, 0, v1, vcc
	s_waitcnt vmcnt(3)
	v_mul_f32_e32 v7, v18, v26
	s_waitcnt lgkmcnt(1)
	v_mul_f32_e32 v22, v20, v26
	s_waitcnt vmcnt(1)
	v_mul_f32_e32 v35, v15, v30
	s_waitcnt vmcnt(0)
	v_mul_f32_e32 v8, v17, v32
	v_mul_f32_e32 v26, v19, v32
	;; [unrolled: 1-line block ×3, first 2 shown]
	s_waitcnt lgkmcnt(0)
	v_mul_f32_e32 v28, v24, v28
	v_mul_f32_e32 v30, v23, v30
	v_fma_f32 v7, v20, v25, -v7
	v_fmac_f32_e32 v22, v18, v25
	v_fma_f32 v18, v19, v31, -v8
	v_fmac_f32_e32 v26, v17, v31
	;; [unrolled: 2-line block ×4, first 2 shown]
	v_sub_f32_e32 v8, v3, v7
	v_sub_f32_e32 v7, v14, v22
	;; [unrolled: 1-line block ×7, first 2 shown]
	v_fma_f32 v22, v14, 2.0, -v7
	v_fma_f32 v14, v2, 2.0, -v16
	;; [unrolled: 1-line block ×7, first 2 shown]
	global_store_dwordx2 v[5:6], v[19:20], off offset:2560
	global_store_dwordx2 v[0:1], v[9:10], off
	global_store_dwordx2 v[0:1], v[2:3], off offset:1664
	v_add_co_u32_e32 v2, vcc, s2, v0
	v_addc_co_u32_e32 v3, vcc, 0, v1, vcc
	global_store_dwordx2 v[2:3], v[17:18], off offset:128
	v_lshrrev_b32_e32 v2, 8, v36
	v_mul_u32_u24_e32 v3, 0x340, v2
	v_lshlrev_b64 v[2:3], 3, v[3:4]
	v_sub_f32_e32 v15, v13, v26
	v_add_co_u32_e32 v0, vcc, v0, v2
	v_mul_hi_u32 v2, v21, s3
	v_fma_f32 v13, v13, 2.0, -v15
	v_addc_co_u32_e32 v1, vcc, v1, v3, vcc
	global_store_dwordx2 v[0:1], v[13:14], off offset:3328
	v_add_co_u32_e32 v0, vcc, s2, v0
	v_addc_co_u32_e32 v1, vcc, 0, v1, vcc
	global_store_dwordx2 v[0:1], v[15:16], off offset:1792
	v_lshrrev_b32_e32 v0, 8, v2
	v_mad_u32_u24 v3, v0, s0, v21
	v_lshlrev_b64 v[0:1], 3, v[3:4]
	v_add_co_u32_e32 v0, vcc, v33, v0
	v_addc_co_u32_e32 v1, vcc, v34, v1, vcc
	global_store_dwordx2 v[0:1], v[22:23], off
	v_add_co_u32_e32 v0, vcc, 0x1000, v0
	v_addc_co_u32_e32 v1, vcc, 0, v1, vcc
	global_store_dwordx2 v[0:1], v[7:8], off offset:2560
.LBB0_17:
	s_endpgm
	.section	.rodata,"a",@progbits
	.p2align	6, 0x0
	.amdhsa_kernel fft_rtc_back_len1664_factors_13_2_2_4_2_2_2_wgs_208_tpt_208_halfLds_sp_op_CI_CI_unitstride_sbrr_dirReg
		.amdhsa_group_segment_fixed_size 0
		.amdhsa_private_segment_fixed_size 0
		.amdhsa_kernarg_size 104
		.amdhsa_user_sgpr_count 6
		.amdhsa_user_sgpr_private_segment_buffer 1
		.amdhsa_user_sgpr_dispatch_ptr 0
		.amdhsa_user_sgpr_queue_ptr 0
		.amdhsa_user_sgpr_kernarg_segment_ptr 1
		.amdhsa_user_sgpr_dispatch_id 0
		.amdhsa_user_sgpr_flat_scratch_init 0
		.amdhsa_user_sgpr_private_segment_size 0
		.amdhsa_uses_dynamic_stack 0
		.amdhsa_system_sgpr_private_segment_wavefront_offset 0
		.amdhsa_system_sgpr_workgroup_id_x 1
		.amdhsa_system_sgpr_workgroup_id_y 0
		.amdhsa_system_sgpr_workgroup_id_z 0
		.amdhsa_system_sgpr_workgroup_info 0
		.amdhsa_system_vgpr_workitem_id 0
		.amdhsa_next_free_vgpr 59
		.amdhsa_next_free_sgpr 28
		.amdhsa_reserve_vcc 1
		.amdhsa_reserve_flat_scratch 0
		.amdhsa_float_round_mode_32 0
		.amdhsa_float_round_mode_16_64 0
		.amdhsa_float_denorm_mode_32 3
		.amdhsa_float_denorm_mode_16_64 3
		.amdhsa_dx10_clamp 1
		.amdhsa_ieee_mode 1
		.amdhsa_fp16_overflow 0
		.amdhsa_exception_fp_ieee_invalid_op 0
		.amdhsa_exception_fp_denorm_src 0
		.amdhsa_exception_fp_ieee_div_zero 0
		.amdhsa_exception_fp_ieee_overflow 0
		.amdhsa_exception_fp_ieee_underflow 0
		.amdhsa_exception_fp_ieee_inexact 0
		.amdhsa_exception_int_div_zero 0
	.end_amdhsa_kernel
	.text
.Lfunc_end0:
	.size	fft_rtc_back_len1664_factors_13_2_2_4_2_2_2_wgs_208_tpt_208_halfLds_sp_op_CI_CI_unitstride_sbrr_dirReg, .Lfunc_end0-fft_rtc_back_len1664_factors_13_2_2_4_2_2_2_wgs_208_tpt_208_halfLds_sp_op_CI_CI_unitstride_sbrr_dirReg
                                        ; -- End function
	.section	.AMDGPU.csdata,"",@progbits
; Kernel info:
; codeLenInByte = 7812
; NumSgprs: 32
; NumVgprs: 59
; ScratchSize: 0
; MemoryBound: 0
; FloatMode: 240
; IeeeMode: 1
; LDSByteSize: 0 bytes/workgroup (compile time only)
; SGPRBlocks: 3
; VGPRBlocks: 14
; NumSGPRsForWavesPerEU: 32
; NumVGPRsForWavesPerEU: 59
; Occupancy: 4
; WaveLimiterHint : 1
; COMPUTE_PGM_RSRC2:SCRATCH_EN: 0
; COMPUTE_PGM_RSRC2:USER_SGPR: 6
; COMPUTE_PGM_RSRC2:TRAP_HANDLER: 0
; COMPUTE_PGM_RSRC2:TGID_X_EN: 1
; COMPUTE_PGM_RSRC2:TGID_Y_EN: 0
; COMPUTE_PGM_RSRC2:TGID_Z_EN: 0
; COMPUTE_PGM_RSRC2:TIDIG_COMP_CNT: 0
	.type	__hip_cuid_fc91bfab175b2a24,@object ; @__hip_cuid_fc91bfab175b2a24
	.section	.bss,"aw",@nobits
	.globl	__hip_cuid_fc91bfab175b2a24
__hip_cuid_fc91bfab175b2a24:
	.byte	0                               ; 0x0
	.size	__hip_cuid_fc91bfab175b2a24, 1

	.ident	"AMD clang version 19.0.0git (https://github.com/RadeonOpenCompute/llvm-project roc-6.4.0 25133 c7fe45cf4b819c5991fe208aaa96edf142730f1d)"
	.section	".note.GNU-stack","",@progbits
	.addrsig
	.addrsig_sym __hip_cuid_fc91bfab175b2a24
	.amdgpu_metadata
---
amdhsa.kernels:
  - .args:
      - .actual_access:  read_only
        .address_space:  global
        .offset:         0
        .size:           8
        .value_kind:     global_buffer
      - .offset:         8
        .size:           8
        .value_kind:     by_value
      - .actual_access:  read_only
        .address_space:  global
        .offset:         16
        .size:           8
        .value_kind:     global_buffer
      - .actual_access:  read_only
        .address_space:  global
        .offset:         24
        .size:           8
        .value_kind:     global_buffer
      - .actual_access:  read_only
        .address_space:  global
        .offset:         32
        .size:           8
        .value_kind:     global_buffer
      - .offset:         40
        .size:           8
        .value_kind:     by_value
      - .actual_access:  read_only
        .address_space:  global
        .offset:         48
        .size:           8
        .value_kind:     global_buffer
      - .actual_access:  read_only
        .address_space:  global
        .offset:         56
        .size:           8
        .value_kind:     global_buffer
      - .offset:         64
        .size:           4
        .value_kind:     by_value
      - .actual_access:  read_only
        .address_space:  global
        .offset:         72
        .size:           8
        .value_kind:     global_buffer
      - .actual_access:  read_only
        .address_space:  global
        .offset:         80
        .size:           8
        .value_kind:     global_buffer
      - .actual_access:  read_only
        .address_space:  global
        .offset:         88
        .size:           8
        .value_kind:     global_buffer
      - .actual_access:  write_only
        .address_space:  global
        .offset:         96
        .size:           8
        .value_kind:     global_buffer
    .group_segment_fixed_size: 0
    .kernarg_segment_align: 8
    .kernarg_segment_size: 104
    .language:       OpenCL C
    .language_version:
      - 2
      - 0
    .max_flat_workgroup_size: 208
    .name:           fft_rtc_back_len1664_factors_13_2_2_4_2_2_2_wgs_208_tpt_208_halfLds_sp_op_CI_CI_unitstride_sbrr_dirReg
    .private_segment_fixed_size: 0
    .sgpr_count:     32
    .sgpr_spill_count: 0
    .symbol:         fft_rtc_back_len1664_factors_13_2_2_4_2_2_2_wgs_208_tpt_208_halfLds_sp_op_CI_CI_unitstride_sbrr_dirReg.kd
    .uniform_work_group_size: 1
    .uses_dynamic_stack: false
    .vgpr_count:     59
    .vgpr_spill_count: 0
    .wavefront_size: 64
amdhsa.target:   amdgcn-amd-amdhsa--gfx906
amdhsa.version:
  - 1
  - 2
...

	.end_amdgpu_metadata
